;; amdgpu-corpus repo=ROCm/rocFFT kind=compiled arch=gfx906 opt=O3
	.text
	.amdgcn_target "amdgcn-amd-amdhsa--gfx906"
	.amdhsa_code_object_version 6
	.protected	fft_rtc_fwd_len100_factors_10_10_wgs_250_tpt_10_dim2_sp_ip_CI_sbcc_twdbase8_2step_dirReg_intrinsicReadWrite ; -- Begin function fft_rtc_fwd_len100_factors_10_10_wgs_250_tpt_10_dim2_sp_ip_CI_sbcc_twdbase8_2step_dirReg_intrinsicReadWrite
	.globl	fft_rtc_fwd_len100_factors_10_10_wgs_250_tpt_10_dim2_sp_ip_CI_sbcc_twdbase8_2step_dirReg_intrinsicReadWrite
	.p2align	8
	.type	fft_rtc_fwd_len100_factors_10_10_wgs_250_tpt_10_dim2_sp_ip_CI_sbcc_twdbase8_2step_dirReg_intrinsicReadWrite,@function
fft_rtc_fwd_len100_factors_10_10_wgs_250_tpt_10_dim2_sp_ip_CI_sbcc_twdbase8_2step_dirReg_intrinsicReadWrite: ; @fft_rtc_fwd_len100_factors_10_10_wgs_250_tpt_10_dim2_sp_ip_CI_sbcc_twdbase8_2step_dirReg_intrinsicReadWrite
; %bb.0:
	s_load_dwordx4 s[0:3], s[4:5], 0x10
	s_mov_b32 s7, 0
	s_waitcnt lgkmcnt(0)
	s_load_dwordx2 s[10:11], s[0:1], 0x8
	s_load_dwordx2 s[14:15], s[4:5], 0x0
	;; [unrolled: 1-line block ×4, first 2 shown]
	s_waitcnt lgkmcnt(0)
	s_add_u32 s0, s10, -1
	s_addc_u32 s1, s11, -1
	s_add_u32 s13, 0, 0xd7093700
	s_addc_u32 s16, 0, 51
	s_add_i32 s16, s16, 0xa3d7070
	s_mul_hi_u32 s20, s13, 0xffffffe7
	s_sub_i32 s20, s20, s13
	s_mul_i32 s21, s16, 0xffffffe7
	s_mul_i32 s17, s13, 0xffffffe7
	s_add_i32 s20, s20, s21
	s_mul_hi_u32 s18, s16, s17
	s_mul_i32 s19, s16, s17
	s_mul_i32 s22, s13, s20
	s_mul_hi_u32 s17, s13, s17
	s_mul_hi_u32 s21, s13, s20
	s_add_u32 s17, s17, s22
	s_addc_u32 s21, 0, s21
	s_add_u32 s17, s17, s19
	s_mul_hi_u32 s22, s16, s20
	s_addc_u32 s17, s21, s18
	s_addc_u32 s18, s22, 0
	s_mul_i32 s19, s16, s20
	s_add_u32 s17, s17, s19
	v_mov_b32_e32 v1, s17
	s_addc_u32 s18, 0, s18
	v_add_co_u32_e32 v1, vcc, s13, v1
	s_cmp_lg_u64 vcc, 0
	s_addc_u32 s13, s16, s18
	v_readfirstlane_b32 s18, v1
	s_mul_i32 s17, s0, s13
	s_mul_hi_u32 s19, s0, s18
	s_mul_hi_u32 s16, s0, s13
	s_add_u32 s17, s19, s17
	s_addc_u32 s16, 0, s16
	s_mul_hi_u32 s20, s1, s18
	s_mul_i32 s18, s1, s18
	s_add_u32 s17, s17, s18
	s_mul_hi_u32 s19, s1, s13
	s_addc_u32 s16, s16, s20
	s_addc_u32 s17, s19, 0
	s_mul_i32 s13, s1, s13
	s_add_u32 s13, s16, s13
	s_addc_u32 s16, 0, s17
	s_add_u32 s17, s13, 1
	s_addc_u32 s18, s16, 0
	s_add_u32 s19, s13, 2
	s_mul_i32 s21, s16, 25
	s_mul_hi_u32 s22, s13, 25
	s_addc_u32 s20, s16, 0
	s_add_i32 s22, s22, s21
	s_mul_i32 s21, s13, 25
	v_mov_b32_e32 v1, s21
	v_sub_co_u32_e32 v1, vcc, s0, v1
	s_cmp_lg_u64 vcc, 0
	s_subb_u32 s0, s1, s22
	v_subrev_co_u32_e32 v2, vcc, 25, v1
	s_cmp_lg_u64 vcc, 0
	s_subb_u32 s1, s0, 0
	v_readfirstlane_b32 s21, v2
	s_cmp_gt_u32 s21, 24
	s_cselect_b32 s21, -1, 0
	s_cmp_eq_u32 s1, 0
	s_cselect_b32 s1, s21, -1
	s_cmp_lg_u32 s1, 0
	s_cselect_b32 s1, s19, s17
	s_cselect_b32 s17, s20, s18
	v_readfirstlane_b32 s18, v1
	s_cmp_gt_u32 s18, 24
	s_cselect_b32 s18, -1, 0
	s_cmp_eq_u32 s0, 0
	s_cselect_b32 s0, s18, -1
	s_cmp_lg_u32 s0, 0
	s_cselect_b32 s0, s1, s13
	s_cselect_b32 s16, s17, s16
	s_add_u32 s0, s0, 1
	s_addc_u32 s1, s16, 0
	v_mov_b32_e32 v2, s1
	v_mov_b32_e32 v1, s0
	v_cmp_lt_u64_e32 vcc, s[6:7], v[1:2]
	s_mov_b64 s[16:17], 0
	s_cbranch_vccnz .LBB0_2
; %bb.1:
	v_cvt_f32_u32_e32 v1, s0
	s_sub_i32 s7, 0, s0
	v_rcp_iflag_f32_e32 v1, v1
	v_mul_f32_e32 v1, 0x4f7ffffe, v1
	v_cvt_u32_f32_e32 v1, v1
	v_readfirstlane_b32 s13, v1
	s_mul_i32 s7, s7, s13
	s_mul_hi_u32 s7, s13, s7
	s_add_i32 s13, s13, s7
	s_mul_hi_u32 s7, s6, s13
	s_mul_i32 s16, s7, s0
	s_sub_i32 s16, s6, s16
	s_add_i32 s13, s7, 1
	s_sub_i32 s17, s16, s0
	s_cmp_ge_u32 s16, s0
	s_cselect_b32 s7, s13, s7
	s_cselect_b32 s16, s17, s16
	s_add_i32 s13, s7, 1
	s_cmp_ge_u32 s16, s0
	s_cselect_b32 s16, s13, s7
.LBB0_2:
	s_mul_i32 s1, s16, s1
	s_mul_hi_u32 s7, s16, s0
	s_add_i32 s7, s7, s1
	s_mul_i32 s0, s16, s0
	s_sub_u32 s6, s6, s0
	s_load_dwordx4 s[0:3], s[2:3], 0x8
	v_mul_u32_u24_e32 v1, 0xa3e, v0
	v_lshrrev_b32_e32 v6, 16, v1
	v_mul_lo_u16_e32 v1, 25, v6
	s_subb_u32 s7, 0, s7
	s_waitcnt lgkmcnt(0)
	s_mul_i32 s3, s6, 25
	v_sub_u16_e32 v7, v0, v1
	s_mul_i32 s7, s7, 25
	s_mul_hi_u32 s1, s6, 25
	s_mul_i32 s6, s3, s0
	s_mul_i32 s2, s2, s16
	v_mul_lo_u32 v10, s0, v7
	v_mul_lo_u32 v5, s12, v6
	s_add_i32 s1, s1, s7
	s_add_i32 s6, s2, s6
	v_mov_b32_e32 v2, s1
	v_add_co_u32_e32 v1, vcc, s3, v7
	s_add_u32 s2, s3, 25
	v_mov_b32_e32 v3, s10
	v_addc_co_u32_e32 v2, vcc, 0, v2, vcc
	s_addc_u32 s3, s1, 0
	v_mov_b32_e32 v4, s11
	v_cmp_le_u64_e32 vcc, s[2:3], v[3:4]
	v_cmp_gt_u64_e64 s[0:1], s[10:11], v[1:2]
	v_add_lshl_u32 v2, v10, v5, 3
	v_add_u32_e32 v3, 20, v6
	v_add_u32_e32 v5, 50, v6
	v_mul_lo_u32 v3, s12, v3
	v_mul_lo_u32 v8, s12, v5
	v_add_u32_e32 v4, 40, v6
	v_mul_lo_u32 v4, s12, v4
	s_or_b64 vcc, vcc, s[0:1]
	v_add_lshl_u32 v3, v10, v3, 3
	v_add_lshl_u32 v8, v10, v8, 3
	s_lshl_b32 s2, s6, 3
	s_mov_b32 s11, 0x20000
	s_mov_b32 s10, -2
	v_cndmask_b32_e32 v3, -1, v3, vcc
	v_cndmask_b32_e32 v8, -1, v8, vcc
	buffer_load_dwordx2 v[14:15], v3, s[8:11], s2 offen
	buffer_load_dwordx2 v[22:23], v8, s[8:11], s2 offen
	v_add_lshl_u32 v3, v10, v4, 3
	v_add_u32_e32 v4, 60, v6
	v_add_u32_e32 v9, 30, v6
	v_mul_lo_u32 v4, s12, v4
	v_mul_lo_u32 v9, s12, v9
	v_cndmask_b32_e32 v3, -1, v3, vcc
	buffer_load_dwordx2 v[16:17], v3, s[8:11], s2 offen
	v_add_lshl_u32 v4, v10, v4, 3
	v_add_lshl_u32 v8, v10, v9, 3
	v_cndmask_b32_e32 v4, -1, v4, vcc
	buffer_load_dwordx2 v[18:19], v4, s[8:11], s2 offen
	v_cndmask_b32_e32 v8, -1, v8, vcc
	buffer_load_dwordx2 v[24:25], v8, s[8:11], s2 offen
	v_or_b32_e32 v3, 0x50, v6
	v_mul_lo_u32 v3, s12, v3
	v_cndmask_b32_e32 v2, -1, v2, vcc
	v_add_u32_e32 v8, 0x5a, v6
	v_mul_lo_u32 v8, s12, v8
	v_add_lshl_u32 v4, v10, v3, 3
	buffer_load_dwordx2 v[2:3], v2, s[8:11], s2 offen
	v_cndmask_b32_e32 v4, -1, v4, vcc
	buffer_load_dwordx2 v[20:21], v4, s[8:11], s2 offen
	v_add_lshl_u32 v8, v10, v8, 3
	v_cndmask_b32_e32 v8, -1, v8, vcc
	buffer_load_dwordx2 v[28:29], v8, s[8:11], s2 offen
	v_add_u32_e32 v4, 10, v6
	v_mul_lo_u32 v4, s12, v4
	v_add_u32_e32 v9, 0x46, v6
	v_mul_lo_u32 v9, s12, v9
	s_mov_b32 s3, 0x3f737871
	v_add_lshl_u32 v4, v10, v4, 3
	v_cndmask_b32_e32 v4, -1, v4, vcc
	buffer_load_dwordx2 v[4:5], v4, s[8:11], s2 offen
	v_add_lshl_u32 v9, v10, v9, 3
	v_cndmask_b32_e32 v9, -1, v9, vcc
	buffer_load_dwordx2 v[26:27], v9, s[8:11], s2 offen
	s_mov_b32 s6, 0x3f167918
	s_mov_b32 s13, 0xbf737871
	;; [unrolled: 1-line block ×3, first 2 shown]
	s_load_dwordx2 s[0:1], s[4:5], 0x8
	s_movk_i32 s4, 0xf8f8
	v_mul_u32_u24_e32 v0, 0x107, v0
	s_waitcnt vmcnt(7)
	v_sub_f32_e32 v11, v14, v16
	s_waitcnt vmcnt(6)
	v_add_f32_e32 v9, v16, v18
	v_sub_f32_e32 v31, v17, v19
	s_waitcnt vmcnt(4)
	v_add_f32_e32 v8, v2, v14
	v_add_f32_e32 v13, v8, v16
	v_fma_f32 v8, -0.5, v9, v2
	s_waitcnt vmcnt(3)
	v_sub_f32_e32 v30, v15, v21
	v_mov_b32_e32 v9, v8
	v_sub_f32_e32 v12, v20, v18
	v_fmac_f32_e32 v9, 0x3f737871, v30
	v_fmac_f32_e32 v8, 0xbf737871, v30
	v_add_f32_e32 v12, v11, v12
	v_fmac_f32_e32 v9, 0x3f167918, v31
	v_fmac_f32_e32 v8, 0xbf167918, v31
	;; [unrolled: 1-line block ×4, first 2 shown]
	v_add_f32_e32 v12, v14, v20
	v_fma_f32 v12, -0.5, v12, v2
	v_add_f32_e32 v11, v13, v18
	v_mov_b32_e32 v13, v12
	v_fmac_f32_e32 v13, 0xbf737871, v31
	v_sub_f32_e32 v2, v16, v14
	v_sub_f32_e32 v32, v18, v20
	v_fmac_f32_e32 v12, 0x3f737871, v31
	v_fmac_f32_e32 v13, 0x3f167918, v30
	v_add_f32_e32 v2, v2, v32
	v_fmac_f32_e32 v12, 0xbf167918, v30
	v_fmac_f32_e32 v13, 0x3e9e377a, v2
	;; [unrolled: 1-line block ×3, first 2 shown]
	v_add_f32_e32 v2, v3, v15
	v_add_f32_e32 v2, v2, v17
	;; [unrolled: 1-line block ×5, first 2 shown]
	v_fma_f32 v2, -0.5, v2, v3
	v_sub_f32_e32 v14, v14, v20
	v_mov_b32_e32 v31, v2
	v_add_f32_e32 v11, v11, v20
	v_fmac_f32_e32 v31, 0xbf737871, v14
	v_sub_f32_e32 v16, v16, v18
	v_sub_f32_e32 v18, v15, v17
	;; [unrolled: 1-line block ×3, first 2 shown]
	v_fmac_f32_e32 v2, 0x3f737871, v14
	v_fmac_f32_e32 v31, 0xbf167918, v16
	v_add_f32_e32 v18, v18, v20
	v_fmac_f32_e32 v2, 0x3f167918, v16
	v_fmac_f32_e32 v31, 0x3e9e377a, v18
	;; [unrolled: 1-line block ×3, first 2 shown]
	v_add_f32_e32 v18, v15, v21
	v_fmac_f32_e32 v3, -0.5, v18
	v_mov_b32_e32 v32, v3
	v_fmac_f32_e32 v32, 0x3f737871, v16
	v_fmac_f32_e32 v3, 0xbf737871, v16
	;; [unrolled: 1-line block ×4, first 2 shown]
	s_waitcnt vmcnt(1)
	v_add_f32_e32 v14, v4, v24
	v_add_f32_e32 v14, v14, v22
	s_waitcnt vmcnt(0)
	v_add_f32_e32 v14, v14, v26
	v_add_f32_e32 v33, v14, v28
	;; [unrolled: 1-line block ×3, first 2 shown]
	v_sub_f32_e32 v15, v17, v15
	v_sub_f32_e32 v17, v19, v21
	v_fma_f32 v21, -0.5, v14, v4
	v_add_f32_e32 v15, v15, v17
	v_sub_f32_e32 v14, v25, v29
	v_mov_b32_e32 v17, v21
	v_fmac_f32_e32 v32, 0x3e9e377a, v15
	v_fmac_f32_e32 v3, 0x3e9e377a, v15
	;; [unrolled: 1-line block ×3, first 2 shown]
	v_sub_f32_e32 v15, v23, v27
	v_sub_f32_e32 v16, v24, v22
	;; [unrolled: 1-line block ×3, first 2 shown]
	v_fmac_f32_e32 v21, 0xbf737871, v14
	v_fmac_f32_e32 v17, 0x3f167918, v15
	v_add_f32_e32 v16, v16, v18
	v_fmac_f32_e32 v21, 0xbf167918, v15
	v_fmac_f32_e32 v17, 0x3e9e377a, v16
	v_fmac_f32_e32 v21, 0x3e9e377a, v16
	v_add_f32_e32 v16, v24, v28
	v_fma_f32 v34, -0.5, v16, v4
	v_mov_b32_e32 v19, v34
	v_fmac_f32_e32 v19, 0xbf737871, v15
	v_sub_f32_e32 v4, v22, v24
	v_sub_f32_e32 v16, v26, v28
	v_fmac_f32_e32 v34, 0x3f737871, v15
	v_fmac_f32_e32 v19, 0x3f167918, v14
	v_add_f32_e32 v4, v4, v16
	v_fmac_f32_e32 v34, 0xbf167918, v14
	v_fmac_f32_e32 v19, 0x3e9e377a, v4
	;; [unrolled: 1-line block ×3, first 2 shown]
	v_add_f32_e32 v4, v5, v25
	v_add_f32_e32 v4, v4, v23
	v_add_f32_e32 v4, v4, v27
	v_add_f32_e32 v35, v4, v29
	v_add_f32_e32 v4, v23, v27
	v_fma_f32 v36, -0.5, v4, v5
	v_sub_f32_e32 v4, v24, v28
	v_mov_b32_e32 v24, v36
	v_fmac_f32_e32 v24, 0xbf737871, v4
	v_sub_f32_e32 v14, v22, v26
	v_sub_f32_e32 v15, v25, v23
	;; [unrolled: 1-line block ×3, first 2 shown]
	v_fmac_f32_e32 v36, 0x3f737871, v4
	v_fmac_f32_e32 v24, 0xbf167918, v14
	v_add_f32_e32 v15, v15, v16
	v_fmac_f32_e32 v36, 0x3f167918, v14
	v_fmac_f32_e32 v24, 0x3e9e377a, v15
	;; [unrolled: 1-line block ×3, first 2 shown]
	v_add_f32_e32 v15, v25, v29
	v_fmac_f32_e32 v5, -0.5, v15
	v_mov_b32_e32 v22, v5
	v_fmac_f32_e32 v22, 0x3f737871, v14
	v_sub_f32_e32 v15, v23, v25
	v_sub_f32_e32 v16, v27, v29
	v_fmac_f32_e32 v5, 0xbf737871, v14
	v_fmac_f32_e32 v22, 0xbf167918, v4
	v_add_f32_e32 v15, v15, v16
	v_fmac_f32_e32 v5, 0x3f167918, v4
	v_fmac_f32_e32 v22, 0x3e9e377a, v15
	;; [unrolled: 1-line block ×3, first 2 shown]
	v_mul_f32_e32 v4, 0x3e9e377a, v34
	v_mul_f32_e32 v29, 0xbf737871, v19
	;; [unrolled: 1-line block ×4, first 2 shown]
	v_fma_f32 v26, v5, s3, -v4
	v_mul_f32_e32 v15, 0x3f4f1bbd, v21
	v_fmac_f32_e32 v29, 0x3e9e377a, v22
	v_mul_f32_e32 v5, 0x3e9e377a, v5
	v_mul_f32_e32 v22, 0x3f4f1bbd, v36
	v_fmac_f32_e32 v23, 0x3f4f1bbd, v17
	v_fma_f32 v27, v36, s6, -v15
	v_mul_f32_e32 v28, 0xbf167918, v17
	v_fma_f32 v34, v34, s13, -v5
	v_fma_f32 v36, v21, s7, -v22
	v_add_f32_e32 v16, v9, v23
	v_add_f32_e32 v20, v8, v27
	v_fmac_f32_e32 v28, 0x3f4f1bbd, v24
	v_add_f32_e32 v5, v3, v34
	v_add_f32_e32 v21, v2, v36
	v_sub_f32_e32 v22, v9, v23
	v_sub_f32_e32 v8, v8, v27
	;; [unrolled: 1-line block ×4, first 2 shown]
	v_mul_u32_u24_e32 v2, 0x7d0, v6
	v_lshlrev_b32_e32 v3, 3, v7
	v_add_f32_e32 v14, v11, v33
	v_fmac_f32_e32 v25, 0x3e9e377a, v19
	v_add_f32_e32 v4, v12, v26
	v_add_f32_e32 v15, v30, v35
	;; [unrolled: 1-line block ×3, first 2 shown]
	v_add3_u32 v2, 0, v2, v3
	v_add_f32_e32 v18, v13, v25
	v_add_f32_e32 v19, v32, v29
	v_sub_f32_e32 v11, v11, v33
	v_sub_f32_e32 v24, v13, v25
	;; [unrolled: 1-line block ×6, first 2 shown]
	ds_write2_b64 v2, v[14:15], v[16:17] offset1:25
	ds_write2_b64 v2, v[18:19], v[4:5] offset0:50 offset1:75
	ds_write2_b64 v2, v[20:21], v[11:12] offset0:100 offset1:125
	;; [unrolled: 1-line block ×4, first 2 shown]
	v_mul_lo_u16_e32 v3, 26, v6
	v_mov_b32_e32 v4, 10
	v_mul_lo_u16_sdwa v3, v3, v4 dst_sel:DWORD dst_unused:UNUSED_PAD src0_sel:BYTE_1 src1_sel:DWORD
	v_sub_u16_e32 v3, v6, v3
	v_and_b32_e32 v11, 0xff, v3
	v_mul_u32_u24_e32 v3, 9, v11
	v_lshlrev_b32_e32 v3, 3, v3
	s_waitcnt lgkmcnt(0)
	s_barrier
	global_load_dwordx4 v[12:15], v3, s[14:15]
	global_load_dwordx4 v[16:19], v3, s[14:15] offset:16
	global_load_dwordx4 v[20:23], v3, s[14:15] offset:32
	;; [unrolled: 1-line block ×3, first 2 shown]
	global_load_dwordx2 v[40:41], v3, s[14:15] offset:64
	v_mad_i32_i24 v2, v6, s4, v2
	ds_read2_b64 v[5:8], v2 offset1:250
	v_add_u32_e32 v3, 0xf80, v2
	ds_read2_b64 v[28:31], v3 offset0:4 offset1:254
	v_add_u32_e32 v3, 0x1f40, v2
	ds_read2_b64 v[32:35], v3 offset1:250
	v_add_u32_e32 v3, 0x2ec0, v2
	ds_read2_b64 v[36:39], v3 offset0:4 offset1:254
	v_add_u32_e32 v4, 0x3e80, v2
	s_waitcnt vmcnt(4) lgkmcnt(3)
	v_mul_f32_e32 v3, v13, v7
	v_mul_f32_e32 v2, v13, v8
	v_fmac_f32_e32 v3, v12, v8
	s_waitcnt vmcnt(3) lgkmcnt(2)
	v_mul_f32_e32 v8, v17, v31
	v_fma_f32 v2, v12, v7, -v2
	v_mul_f32_e32 v7, v15, v29
	v_mul_f32_e32 v13, v15, v28
	v_fma_f32 v15, v16, v30, -v8
	v_mul_f32_e32 v8, v17, v30
	v_fma_f32 v7, v14, v28, -v7
	v_fmac_f32_e32 v13, v14, v29
	v_fmac_f32_e32 v8, v16, v31
	ds_read2_b64 v[28:31], v4 offset1:250
	s_waitcnt lgkmcnt(2)
	v_mul_f32_e32 v4, v19, v33
	v_fma_f32 v42, v18, v32, -v4
	s_waitcnt vmcnt(2)
	v_mul_f32_e32 v4, v21, v35
	v_mul_f32_e32 v32, v19, v32
	v_fma_f32 v19, v20, v34, -v4
	s_waitcnt lgkmcnt(1)
	v_mul_f32_e32 v4, v37, v23
	v_fmac_f32_e32 v32, v18, v33
	v_mul_f32_e32 v9, v21, v34
	v_fma_f32 v33, v36, v22, -v4
	v_mul_f32_e32 v34, v36, v23
	s_waitcnt vmcnt(1)
	v_mul_f32_e32 v4, v39, v25
	v_fmac_f32_e32 v34, v37, v22
	v_fma_f32 v22, v38, v24, -v4
	s_waitcnt lgkmcnt(0)
	v_mul_f32_e32 v4, v29, v27
	v_mul_f32_e32 v16, v38, v25
	v_fma_f32 v25, v28, v26, -v4
	s_waitcnt vmcnt(0)
	v_mul_f32_e32 v4, v31, v41
	v_fmac_f32_e32 v16, v39, v24
	v_fma_f32 v24, v30, v40, -v4
	v_add_f32_e32 v4, v5, v7
	v_add_f32_e32 v4, v4, v42
	;; [unrolled: 1-line block ×3, first 2 shown]
	v_mul_f32_e32 v27, v28, v27
	v_add_f32_e32 v17, v4, v25
	v_add_f32_e32 v4, v42, v33
	v_fmac_f32_e32 v27, v29, v26
	v_fma_f32 v14, -0.5, v4, v5
	v_sub_f32_e32 v4, v13, v27
	v_mov_b32_e32 v18, v14
	v_fmac_f32_e32 v9, v20, v35
	v_fmac_f32_e32 v18, 0x3f737871, v4
	v_sub_f32_e32 v12, v32, v34
	v_sub_f32_e32 v20, v7, v42
	v_sub_f32_e32 v21, v25, v33
	v_fmac_f32_e32 v14, 0xbf737871, v4
	v_fmac_f32_e32 v18, 0x3f167918, v12
	v_add_f32_e32 v20, v20, v21
	v_fmac_f32_e32 v14, 0xbf167918, v12
	v_fmac_f32_e32 v18, 0x3e9e377a, v20
	;; [unrolled: 1-line block ×3, first 2 shown]
	v_add_f32_e32 v20, v7, v25
	v_fma_f32 v20, -0.5, v20, v5
	v_mov_b32_e32 v21, v20
	v_fmac_f32_e32 v21, 0xbf737871, v12
	v_sub_f32_e32 v5, v42, v7
	v_sub_f32_e32 v26, v33, v25
	v_fmac_f32_e32 v20, 0x3f737871, v12
	v_fmac_f32_e32 v21, 0x3f167918, v4
	v_add_f32_e32 v5, v5, v26
	v_fmac_f32_e32 v20, 0xbf167918, v4
	v_fmac_f32_e32 v21, 0x3e9e377a, v5
	;; [unrolled: 1-line block ×3, first 2 shown]
	v_add_f32_e32 v5, v32, v34
	v_fma_f32 v12, -0.5, v5, v6
	v_sub_f32_e32 v25, v7, v25
	v_mov_b32_e32 v5, v12
	v_fmac_f32_e32 v5, 0xbf737871, v25
	v_sub_f32_e32 v26, v42, v33
	v_sub_f32_e32 v7, v13, v32
	v_sub_f32_e32 v28, v27, v34
	v_fmac_f32_e32 v12, 0x3f737871, v25
	v_fmac_f32_e32 v5, 0xbf167918, v26
	v_add_f32_e32 v7, v7, v28
	v_fmac_f32_e32 v12, 0x3f167918, v26
	v_add_f32_e32 v4, v6, v13
	v_fmac_f32_e32 v5, 0x3e9e377a, v7
	v_fmac_f32_e32 v12, 0x3e9e377a, v7
	v_add_f32_e32 v7, v13, v27
	v_add_f32_e32 v4, v4, v32
	v_fma_f32 v6, -0.5, v7, v6
	v_add_f32_e32 v4, v4, v34
	v_mov_b32_e32 v7, v6
	v_add_f32_e32 v4, v4, v27
	v_fmac_f32_e32 v7, 0x3f737871, v26
	v_sub_f32_e32 v13, v32, v13
	v_sub_f32_e32 v27, v34, v27
	v_fmac_f32_e32 v6, 0xbf737871, v26
	v_fmac_f32_e32 v7, 0xbf167918, v25
	v_add_f32_e32 v13, v13, v27
	v_fmac_f32_e32 v6, 0x3f167918, v25
	v_fmac_f32_e32 v7, 0x3e9e377a, v13
	;; [unrolled: 1-line block ×3, first 2 shown]
	v_add_f32_e32 v13, v2, v15
	v_add_f32_e32 v13, v13, v19
	;; [unrolled: 1-line block ×3, first 2 shown]
	v_mul_f32_e32 v23, v30, v41
	v_add_f32_e32 v25, v13, v24
	v_add_f32_e32 v13, v19, v22
	v_fmac_f32_e32 v23, v31, v40
	v_fma_f32 v26, -0.5, v13, v2
	v_sub_f32_e32 v28, v8, v23
	v_mov_b32_e32 v27, v26
	v_sub_f32_e32 v13, v15, v19
	v_sub_f32_e32 v30, v24, v22
	v_fmac_f32_e32 v27, 0x3f737871, v28
	v_sub_f32_e32 v29, v9, v16
	v_add_f32_e32 v13, v13, v30
	v_fmac_f32_e32 v26, 0xbf737871, v28
	v_mul_lo_u32 v30, v1, v11
	v_fmac_f32_e32 v27, 0x3f167918, v29
	v_fmac_f32_e32 v26, 0xbf167918, v29
	;; [unrolled: 1-line block ×4, first 2 shown]
	v_add_f32_e32 v13, v15, v24
	v_fmac_f32_e32 v2, -0.5, v13
	v_mov_b32_e32 v13, 3
	v_lshlrev_b32_sdwa v34, v13, v30 dst_sel:DWORD dst_unused:UNUSED_PAD src0_sel:DWORD src1_sel:BYTE_0
	v_lshlrev_b32_sdwa v35, v13, v30 dst_sel:DWORD dst_unused:UNUSED_PAD src0_sel:DWORD src1_sel:BYTE_1
	global_load_dwordx2 v[30:31], v34, s[0:1]
	global_load_dwordx2 v[32:33], v35, s[0:1] offset:2048
	v_add_u32_e32 v34, 10, v11
	v_mul_lo_u32 v34, v1, v34
	v_sub_f32_e32 v38, v19, v15
	v_sub_f32_e32 v39, v22, v24
	v_mov_b32_e32 v40, v2
	v_lshlrev_b32_sdwa v41, v13, v34 dst_sel:DWORD dst_unused:UNUSED_PAD src0_sel:DWORD src1_sel:BYTE_0
	v_lshlrev_b32_sdwa v42, v13, v34 dst_sel:DWORD dst_unused:UNUSED_PAD src0_sel:DWORD src1_sel:BYTE_1
	global_load_dwordx2 v[34:35], v41, s[0:1]
	global_load_dwordx2 v[36:37], v42, s[0:1] offset:2048
	v_add_f32_e32 v41, v38, v39
	v_add_u32_e32 v38, 20, v11
	v_mul_lo_u32 v38, v1, v38
	v_fmac_f32_e32 v40, 0xbf737871, v29
	v_fmac_f32_e32 v2, 0x3f737871, v29
	;; [unrolled: 1-line block ×3, first 2 shown]
	v_lshlrev_b32_sdwa v42, v13, v38 dst_sel:DWORD dst_unused:UNUSED_PAD src0_sel:DWORD src1_sel:BYTE_0
	v_fmac_f32_e32 v2, 0xbf167918, v28
	v_lshlrev_b32_sdwa v43, v13, v38 dst_sel:DWORD dst_unused:UNUSED_PAD src0_sel:DWORD src1_sel:BYTE_1
	global_load_dwordx2 v[28:29], v42, s[0:1]
	global_load_dwordx2 v[38:39], v43, s[0:1] offset:2048
	v_add_f32_e32 v42, v9, v16
	v_fma_f32 v42, -0.5, v42, v3
	v_sub_f32_e32 v15, v15, v24
	v_sub_f32_e32 v19, v19, v22
	;; [unrolled: 1-line block ×4, first 2 shown]
	v_add_f32_e32 v22, v22, v24
	v_mov_b32_e32 v24, v42
	v_fmac_f32_e32 v24, 0xbf737871, v15
	v_fmac_f32_e32 v42, 0x3f737871, v15
	;; [unrolled: 1-line block ×6, first 2 shown]
	v_add_f32_e32 v22, v8, v23
	v_fmac_f32_e32 v40, 0x3e9e377a, v41
	v_fmac_f32_e32 v2, 0x3e9e377a, v41
	v_add_f32_e32 v41, v3, v8
	v_fmac_f32_e32 v3, -0.5, v22
	v_mov_b32_e32 v22, v3
	v_add_f32_e32 v41, v41, v9
	v_fmac_f32_e32 v22, 0x3f737871, v19
	v_sub_f32_e32 v8, v9, v8
	v_sub_f32_e32 v9, v16, v23
	v_fmac_f32_e32 v3, 0xbf737871, v19
	v_fmac_f32_e32 v22, 0xbf167918, v15
	v_add_f32_e32 v8, v8, v9
	v_fmac_f32_e32 v3, 0x3f167918, v15
	v_add_f32_e32 v41, v41, v16
	v_fmac_f32_e32 v22, 0x3e9e377a, v8
	v_fmac_f32_e32 v3, 0x3e9e377a, v8
	v_mul_f32_e32 v8, 0x3f167918, v24
	v_mul_f32_e32 v16, 0x3e9e377a, v2
	v_add_f32_e32 v41, v41, v23
	v_fmac_f32_e32 v8, 0x3f4f1bbd, v27
	v_mul_f32_e32 v15, 0x3f737871, v22
	v_fma_f32 v23, v3, s3, -v16
	v_mul_f32_e32 v3, 0x3e9e377a, v3
	v_add_f32_e32 v9, v17, v25
	v_add_f32_e32 v43, v18, v8
	v_fmac_f32_e32 v15, 0x3e9e377a, v40
	v_mul_f32_e32 v40, 0xbf737871, v40
	v_fma_f32 v47, v2, s13, -v3
	v_mul_f32_e32 v2, 0x3f4f1bbd, v42
	v_sub_f32_e32 v19, v17, v25
	v_sub_f32_e32 v17, v18, v8
	v_fmac_f32_e32 v40, 0x3e9e377a, v22
	v_fma_f32 v22, v26, s7, -v2
	v_add_f32_e32 v2, v4, v41
	v_mul_f32_e32 v45, 0xbf167918, v27
	v_mul_f32_e32 v16, 0x3f4f1bbd, v26
	v_fmac_f32_e32 v45, 0x3f4f1bbd, v24
	v_fma_f32 v24, v42, s6, -v16
	v_add_f32_e32 v44, v21, v15
	v_add_f32_e32 v46, v20, v23
	;; [unrolled: 1-line block ×3, first 2 shown]
	v_sub_f32_e32 v16, v21, v15
	v_sub_f32_e32 v15, v20, v23
	;; [unrolled: 1-line block ×3, first 2 shown]
	v_add_f32_e32 v42, v5, v45
	s_waitcnt vmcnt(4)
	v_mul_f32_e32 v18, v30, v33
	v_mul_f32_e32 v3, v31, v33
	v_fmac_f32_e32 v18, v31, v32
	v_fma_f32 v3, v30, v32, -v3
	v_mul_f32_e32 v8, v2, v18
	v_fma_f32 v8, v9, v3, -v8
	v_mul_f32_e32 v9, v9, v18
	v_fmac_f32_e32 v9, v2, v3
	v_add_u32_e32 v2, 30, v11
	v_mul_lo_u32 v2, v1, v2
	s_waitcnt vmcnt(2)
	v_mul_f32_e32 v3, v35, v37
	v_fma_f32 v18, v34, v36, -v3
	v_mul_f32_e32 v3, v34, v37
	v_lshlrev_b32_sdwa v25, v13, v2 dst_sel:DWORD dst_unused:UNUSED_PAD src0_sel:DWORD src1_sel:BYTE_0
	v_lshlrev_b32_sdwa v2, v13, v2 dst_sel:DWORD dst_unused:UNUSED_PAD src0_sel:DWORD src1_sel:BYTE_1
	global_load_dwordx2 v[20:21], v25, s[0:1]
	global_load_dwordx2 v[23:24], v2, s[0:1] offset:2048
	v_add_u32_e32 v2, 40, v11
	v_mul_lo_u32 v2, v1, v2
	s_waitcnt vmcnt(2)
	v_mul_f32_e32 v25, v29, v39
	v_fma_f32 v33, v28, v38, -v25
	v_mul_f32_e32 v34, v28, v39
	v_lshlrev_b32_sdwa v30, v13, v2 dst_sel:DWORD dst_unused:UNUSED_PAD src0_sel:DWORD src1_sel:BYTE_0
	v_lshlrev_b32_sdwa v2, v13, v2 dst_sel:DWORD dst_unused:UNUSED_PAD src0_sel:DWORD src1_sel:BYTE_1
	global_load_dwordx2 v[25:26], v30, s[0:1]
	global_load_dwordx2 v[27:28], v2, s[0:1] offset:2048
	v_add_u32_e32 v2, 50, v11
	v_fmac_f32_e32 v34, v29, v38
	v_mul_lo_u32 v29, v1, v2
	v_fmac_f32_e32 v3, v35, v36
	v_sub_f32_e32 v39, v4, v41
	v_add_f32_e32 v4, v7, v40
	v_lshlrev_b32_sdwa v35, v13, v29 dst_sel:DWORD dst_unused:UNUSED_PAD src0_sel:DWORD src1_sel:BYTE_0
	v_lshlrev_b32_sdwa v36, v13, v29 dst_sel:DWORD dst_unused:UNUSED_PAD src0_sel:DWORD src1_sel:BYTE_1
	global_load_dwordx2 v[29:30], v35, s[0:1]
	global_load_dwordx2 v[31:32], v36, s[0:1] offset:2048
	v_sub_f32_e32 v41, v5, v45
	v_mul_f32_e32 v5, v4, v34
	v_add_f32_e32 v35, v6, v47
	v_sub_f32_e32 v40, v7, v40
	v_sub_f32_e32 v45, v6, v47
	v_fma_f32 v6, v44, v33, -v5
	v_mul_f32_e32 v7, v44, v34
	v_mul_f32_e32 v2, v42, v3
	;; [unrolled: 1-line block ×3, first 2 shown]
	v_fmac_f32_e32 v7, v4, v33
	v_fma_f32 v2, v43, v18, -v2
	v_fmac_f32_e32 v3, v42, v18
	v_add_u32_e32 v36, 0x5a, v11
	v_add_f32_e32 v43, v12, v22
	s_waitcnt vmcnt(4)
	v_mul_f32_e32 v5, v20, v24
	v_mul_f32_e32 v4, v21, v24
	v_fmac_f32_e32 v5, v21, v23
	v_fma_f32 v18, v20, v23, -v4
	v_mul_f32_e32 v4, v35, v5
	v_mul_f32_e32 v5, v46, v5
	v_fma_f32 v4, v46, v18, -v4
	v_fmac_f32_e32 v5, v35, v18
	s_waitcnt vmcnt(2)
	v_mul_f32_e32 v20, v26, v28
	v_add_u32_e32 v18, 60, v11
	v_fma_f32 v42, v25, v27, -v20
	v_add_u32_e32 v20, 0x46, v11
	v_mul_lo_u32 v18, v1, v18
	v_mul_f32_e32 v34, v25, v28
	v_mul_lo_u32 v28, v1, v20
	v_fmac_f32_e32 v34, v26, v27
	v_lshlrev_b32_sdwa v25, v13, v18 dst_sel:DWORD dst_unused:UNUSED_PAD src0_sel:DWORD src1_sel:BYTE_0
	v_lshlrev_b32_sdwa v18, v13, v18 dst_sel:DWORD dst_unused:UNUSED_PAD src0_sel:DWORD src1_sel:BYTE_1
	v_lshlrev_b32_sdwa v33, v13, v28 dst_sel:DWORD dst_unused:UNUSED_PAD src0_sel:DWORD src1_sel:BYTE_0
	global_load_dwordx2 v[20:21], v25, s[0:1]
	global_load_dwordx2 v[23:24], v18, s[0:1] offset:2048
	v_lshlrev_b32_sdwa v35, v13, v28 dst_sel:DWORD dst_unused:UNUSED_PAD src0_sel:DWORD src1_sel:BYTE_1
	global_load_dwordx2 v[25:26], v33, s[0:1]
	global_load_dwordx2 v[27:28], v35, s[0:1] offset:2048
	v_or_b32_e32 v33, 0x50, v11
	v_mul_lo_u32 v33, v1, v33
	v_mul_lo_u32 v1, v1, v36
	s_waitcnt vmcnt(4)
	v_mul_f32_e32 v18, v30, v32
	v_mul_f32_e32 v44, v29, v32
	v_lshlrev_b32_sdwa v35, v13, v33 dst_sel:DWORD dst_unused:UNUSED_PAD src0_sel:DWORD src1_sel:BYTE_0
	v_fma_f32 v18, v29, v31, -v18
	v_fmac_f32_e32 v44, v30, v31
	v_lshlrev_b32_sdwa v33, v13, v33 dst_sel:DWORD dst_unused:UNUSED_PAD src0_sel:DWORD src1_sel:BYTE_1
	global_load_dwordx2 v[29:30], v35, s[0:1]
	global_load_dwordx2 v[31:32], v33, s[0:1] offset:2048
	v_lshlrev_b32_sdwa v46, v13, v1 dst_sel:DWORD dst_unused:UNUSED_PAD src0_sel:DWORD src1_sel:BYTE_0
	v_lshlrev_b32_sdwa v1, v13, v1 dst_sel:DWORD dst_unused:UNUSED_PAD src0_sel:DWORD src1_sel:BYTE_1
	global_load_dwordx2 v[35:36], v46, s[0:1]
	global_load_dwordx2 v[37:38], v1, s[0:1] offset:2048
	v_sub_f32_e32 v1, v12, v22
	v_mul_f32_e32 v12, v39, v44
	v_fma_f32 v12, v19, v18, -v12
	v_mul_f32_e32 v13, v19, v44
	v_fmac_f32_e32 v13, v39, v18
	s_movk_i32 s0, 0x64
	v_mul_lo_u16_sdwa v0, v0, s0 dst_sel:DWORD dst_unused:UNUSED_PAD src0_sel:WORD_1 src1_sel:DWORD
	v_add_u32_e32 v0, v11, v0
	v_mul_lo_u32 v11, s12, v0
	v_mul_f32_e32 v33, v43, v34
	v_mul_f32_e32 v34, v48, v34
	v_fma_f32 v33, v48, v42, -v33
	v_add_lshl_u32 v11, v10, v11, 3
	v_cndmask_b32_e32 v11, -1, v11, vcc
	buffer_store_dwordx2 v[8:9], v11, s[8:11], s2 offen
	v_add_u32_e32 v8, 20, v0
	v_mul_lo_u32 v8, s12, v8
	v_fmac_f32_e32 v34, v43, v42
	s_waitcnt vmcnt(7)
	v_mul_f32_e32 v19, v20, v24
	v_mul_f32_e32 v18, v21, v24
	v_fmac_f32_e32 v19, v21, v23
	v_fma_f32 v22, v20, v23, -v18
	v_mul_f32_e32 v18, v41, v19
	s_waitcnt vmcnt(5)
	v_mul_f32_e32 v21, v25, v28
	v_fma_f32 v18, v17, v22, -v18
	v_mul_f32_e32 v19, v17, v19
	v_mul_f32_e32 v17, v26, v28
	v_fmac_f32_e32 v21, v26, v27
	v_fma_f32 v17, v25, v27, -v17
	v_mul_f32_e32 v20, v40, v21
	v_mul_f32_e32 v21, v16, v21
	v_fma_f32 v20, v16, v17, -v20
	v_fmac_f32_e32 v21, v40, v17
	s_waitcnt vmcnt(3)
	v_mul_f32_e32 v17, v29, v32
	v_mul_f32_e32 v16, v30, v32
	v_fmac_f32_e32 v17, v30, v31
	v_fmac_f32_e32 v19, v41, v22
	v_fma_f32 v22, v29, v31, -v16
	v_mul_f32_e32 v16, v45, v17
	s_waitcnt vmcnt(1)
	v_mul_f32_e32 v23, v35, v38
	v_fma_f32 v16, v15, v22, -v16
	v_mul_f32_e32 v17, v15, v17
	v_mul_f32_e32 v15, v36, v38
	v_fmac_f32_e32 v23, v36, v37
	v_fmac_f32_e32 v17, v45, v22
	v_fma_f32 v15, v35, v37, -v15
	v_mul_f32_e32 v22, v1, v23
	v_mul_f32_e32 v23, v14, v23
	v_fmac_f32_e32 v23, v1, v15
	v_add_u32_e32 v1, 10, v0
	v_mul_lo_u32 v1, s12, v1
	v_fma_f32 v22, v14, v15, -v22
	v_add_lshl_u32 v1, v10, v1, 3
	v_cndmask_b32_e32 v1, -1, v1, vcc
	buffer_store_dwordx2 v[2:3], v1, s[8:11], s2 offen
	v_add_u32_e32 v1, 30, v0
	v_add_lshl_u32 v2, v10, v8, 3
	v_mul_lo_u32 v1, s12, v1
	v_cndmask_b32_e32 v2, -1, v2, vcc
	buffer_store_dwordx2 v[6:7], v2, s[8:11], s2 offen
	v_add_u32_e32 v2, 40, v0
	v_mul_lo_u32 v2, s12, v2
	v_add_lshl_u32 v1, v10, v1, 3
	v_cndmask_b32_e32 v1, -1, v1, vcc
	buffer_store_dwordx2 v[4:5], v1, s[8:11], s2 offen
	v_add_u32_e32 v1, 50, v0
	v_add_lshl_u32 v2, v10, v2, 3
	v_mul_lo_u32 v1, s12, v1
	v_cndmask_b32_e32 v2, -1, v2, vcc
	buffer_store_dwordx2 v[33:34], v2, s[8:11], s2 offen
	v_add_u32_e32 v2, 60, v0
	v_mul_lo_u32 v2, s12, v2
	v_add_lshl_u32 v1, v10, v1, 3
	v_cndmask_b32_e32 v1, -1, v1, vcc
	buffer_store_dwordx2 v[12:13], v1, s[8:11], s2 offen
	v_add_u32_e32 v1, 0x46, v0
	v_add_lshl_u32 v2, v10, v2, 3
	v_mul_lo_u32 v1, s12, v1
	v_cndmask_b32_e32 v2, -1, v2, vcc
	buffer_store_dwordx2 v[18:19], v2, s[8:11], s2 offen
	v_add_u32_e32 v2, 0x50, v0
	v_add_u32_e32 v0, 0x5a, v0
	v_mul_lo_u32 v2, s12, v2
	v_mul_lo_u32 v0, s12, v0
	v_add_lshl_u32 v1, v10, v1, 3
	v_cndmask_b32_e32 v1, -1, v1, vcc
	buffer_store_dwordx2 v[20:21], v1, s[8:11], s2 offen
	v_add_lshl_u32 v1, v10, v2, 3
	v_add_lshl_u32 v0, v10, v0, 3
	v_cndmask_b32_e32 v1, -1, v1, vcc
	v_cndmask_b32_e32 v0, -1, v0, vcc
	buffer_store_dwordx2 v[16:17], v1, s[8:11], s2 offen
	buffer_store_dwordx2 v[22:23], v0, s[8:11], s2 offen
	s_endpgm
	.section	.rodata,"a",@progbits
	.p2align	6, 0x0
	.amdhsa_kernel fft_rtc_fwd_len100_factors_10_10_wgs_250_tpt_10_dim2_sp_ip_CI_sbcc_twdbase8_2step_dirReg_intrinsicReadWrite
		.amdhsa_group_segment_fixed_size 0
		.amdhsa_private_segment_fixed_size 0
		.amdhsa_kernarg_size 88
		.amdhsa_user_sgpr_count 6
		.amdhsa_user_sgpr_private_segment_buffer 1
		.amdhsa_user_sgpr_dispatch_ptr 0
		.amdhsa_user_sgpr_queue_ptr 0
		.amdhsa_user_sgpr_kernarg_segment_ptr 1
		.amdhsa_user_sgpr_dispatch_id 0
		.amdhsa_user_sgpr_flat_scratch_init 0
		.amdhsa_user_sgpr_private_segment_size 0
		.amdhsa_uses_dynamic_stack 0
		.amdhsa_system_sgpr_private_segment_wavefront_offset 0
		.amdhsa_system_sgpr_workgroup_id_x 1
		.amdhsa_system_sgpr_workgroup_id_y 0
		.amdhsa_system_sgpr_workgroup_id_z 0
		.amdhsa_system_sgpr_workgroup_info 0
		.amdhsa_system_vgpr_workitem_id 0
		.amdhsa_next_free_vgpr 49
		.amdhsa_next_free_sgpr 23
		.amdhsa_reserve_vcc 1
		.amdhsa_reserve_flat_scratch 0
		.amdhsa_float_round_mode_32 0
		.amdhsa_float_round_mode_16_64 0
		.amdhsa_float_denorm_mode_32 3
		.amdhsa_float_denorm_mode_16_64 3
		.amdhsa_dx10_clamp 1
		.amdhsa_ieee_mode 1
		.amdhsa_fp16_overflow 0
		.amdhsa_exception_fp_ieee_invalid_op 0
		.amdhsa_exception_fp_denorm_src 0
		.amdhsa_exception_fp_ieee_div_zero 0
		.amdhsa_exception_fp_ieee_overflow 0
		.amdhsa_exception_fp_ieee_underflow 0
		.amdhsa_exception_fp_ieee_inexact 0
		.amdhsa_exception_int_div_zero 0
	.end_amdhsa_kernel
	.text
.Lfunc_end0:
	.size	fft_rtc_fwd_len100_factors_10_10_wgs_250_tpt_10_dim2_sp_ip_CI_sbcc_twdbase8_2step_dirReg_intrinsicReadWrite, .Lfunc_end0-fft_rtc_fwd_len100_factors_10_10_wgs_250_tpt_10_dim2_sp_ip_CI_sbcc_twdbase8_2step_dirReg_intrinsicReadWrite
                                        ; -- End function
	.section	.AMDGPU.csdata,"",@progbits
; Kernel info:
; codeLenInByte = 4520
; NumSgprs: 27
; NumVgprs: 49
; ScratchSize: 0
; MemoryBound: 0
; FloatMode: 240
; IeeeMode: 1
; LDSByteSize: 0 bytes/workgroup (compile time only)
; SGPRBlocks: 3
; VGPRBlocks: 12
; NumSGPRsForWavesPerEU: 27
; NumVGPRsForWavesPerEU: 49
; Occupancy: 4
; WaveLimiterHint : 0
; COMPUTE_PGM_RSRC2:SCRATCH_EN: 0
; COMPUTE_PGM_RSRC2:USER_SGPR: 6
; COMPUTE_PGM_RSRC2:TRAP_HANDLER: 0
; COMPUTE_PGM_RSRC2:TGID_X_EN: 1
; COMPUTE_PGM_RSRC2:TGID_Y_EN: 0
; COMPUTE_PGM_RSRC2:TGID_Z_EN: 0
; COMPUTE_PGM_RSRC2:TIDIG_COMP_CNT: 0
	.type	__hip_cuid_89dd90b6a2a0c432,@object ; @__hip_cuid_89dd90b6a2a0c432
	.section	.bss,"aw",@nobits
	.globl	__hip_cuid_89dd90b6a2a0c432
__hip_cuid_89dd90b6a2a0c432:
	.byte	0                               ; 0x0
	.size	__hip_cuid_89dd90b6a2a0c432, 1

	.ident	"AMD clang version 19.0.0git (https://github.com/RadeonOpenCompute/llvm-project roc-6.4.0 25133 c7fe45cf4b819c5991fe208aaa96edf142730f1d)"
	.section	".note.GNU-stack","",@progbits
	.addrsig
	.addrsig_sym __hip_cuid_89dd90b6a2a0c432
	.amdgpu_metadata
---
amdhsa.kernels:
  - .args:
      - .actual_access:  read_only
        .address_space:  global
        .offset:         0
        .size:           8
        .value_kind:     global_buffer
      - .address_space:  global
        .offset:         8
        .size:           8
        .value_kind:     global_buffer
      - .actual_access:  read_only
        .address_space:  global
        .offset:         16
        .size:           8
        .value_kind:     global_buffer
      - .actual_access:  read_only
        .address_space:  global
        .offset:         24
        .size:           8
        .value_kind:     global_buffer
      - .offset:         32
        .size:           8
        .value_kind:     by_value
      - .actual_access:  read_only
        .address_space:  global
        .offset:         40
        .size:           8
        .value_kind:     global_buffer
      - .actual_access:  read_only
        .address_space:  global
        .offset:         48
        .size:           8
        .value_kind:     global_buffer
      - .offset:         56
        .size:           4
        .value_kind:     by_value
      - .actual_access:  read_only
        .address_space:  global
        .offset:         64
        .size:           8
        .value_kind:     global_buffer
      - .actual_access:  read_only
        .address_space:  global
        .offset:         72
        .size:           8
        .value_kind:     global_buffer
      - .address_space:  global
        .offset:         80
        .size:           8
        .value_kind:     global_buffer
    .group_segment_fixed_size: 0
    .kernarg_segment_align: 8
    .kernarg_segment_size: 88
    .language:       OpenCL C
    .language_version:
      - 2
      - 0
    .max_flat_workgroup_size: 250
    .name:           fft_rtc_fwd_len100_factors_10_10_wgs_250_tpt_10_dim2_sp_ip_CI_sbcc_twdbase8_2step_dirReg_intrinsicReadWrite
    .private_segment_fixed_size: 0
    .sgpr_count:     27
    .sgpr_spill_count: 0
    .symbol:         fft_rtc_fwd_len100_factors_10_10_wgs_250_tpt_10_dim2_sp_ip_CI_sbcc_twdbase8_2step_dirReg_intrinsicReadWrite.kd
    .uniform_work_group_size: 1
    .uses_dynamic_stack: false
    .vgpr_count:     49
    .vgpr_spill_count: 0
    .wavefront_size: 64
amdhsa.target:   amdgcn-amd-amdhsa--gfx906
amdhsa.version:
  - 1
  - 2
...

	.end_amdgpu_metadata
